;; amdgpu-corpus repo=ROCm/rocFFT kind=compiled arch=gfx950 opt=O3
	.text
	.amdgcn_target "amdgcn-amd-amdhsa--gfx950"
	.amdhsa_code_object_version 6
	.protected	bluestein_single_fwd_len245_dim1_sp_op_CI_CI ; -- Begin function bluestein_single_fwd_len245_dim1_sp_op_CI_CI
	.globl	bluestein_single_fwd_len245_dim1_sp_op_CI_CI
	.p2align	8
	.type	bluestein_single_fwd_len245_dim1_sp_op_CI_CI,@function
bluestein_single_fwd_len245_dim1_sp_op_CI_CI: ; @bluestein_single_fwd_len245_dim1_sp_op_CI_CI
; %bb.0:
	s_load_dwordx4 s[16:19], s[0:1], 0x28
	v_mul_u32_u24_e32 v1, 0x751, v0
	v_lshrrev_b32_e32 v2, 16, v1
	v_mad_u64_u32 v[46:47], s[2:3], s2, 7, v[2:3]
	v_mov_b32_e32 v33, 0
	v_mov_b32_e32 v47, v33
	s_waitcnt lgkmcnt(0)
	v_cmp_gt_u64_e32 vcc, s[16:17], v[46:47]
	s_and_saveexec_b64 s[2:3], vcc
	s_cbranch_execz .LBB0_10
; %bb.1:
	s_load_dwordx4 s[4:7], s[0:1], 0x18
	s_load_dwordx4 s[8:11], s[0:1], 0x0
	v_mul_lo_u16_e32 v1, 35, v2
	v_sub_u16_e32 v47, v0, v1
	v_mov_b32_e32 v4, s18
	s_waitcnt lgkmcnt(0)
	s_load_dwordx4 s[12:15], s[4:5], 0x0
	v_mov_b32_e32 v5, s19
	v_mov_b32_e32 v14, 0x118
	v_lshlrev_b32_e32 v32, 3, v47
	s_mov_b32 s18, 0x3f5ff5aa
	s_waitcnt lgkmcnt(0)
	v_mad_u64_u32 v[0:1], s[2:3], s14, v46, 0
	v_mov_b32_e32 v2, v1
	v_mad_u64_u32 v[2:3], s[2:3], s15, v46, v[2:3]
	v_mov_b32_e32 v1, v2
	;; [unrolled: 2-line block ×4, first 2 shown]
	v_lshl_add_u64 v[0:1], v[0:1], 3, v[4:5]
	v_lshl_add_u64 v[0:1], v[2:3], 3, v[0:1]
	global_load_dwordx2 v[2:3], v[0:1], off
	v_mad_u64_u32 v[0:1], s[2:3], s12, v14, v[0:1]
	s_mul_i32 s4, s13, 0x118
	v_add_u32_e32 v1, s4, v1
	v_mad_u64_u32 v[4:5], s[2:3], s12, v14, v[0:1]
	v_add_u32_e32 v5, s4, v5
	global_load_dwordx2 v[58:59], v32, s[8:9]
	global_load_dwordx2 v[56:57], v32, s[8:9] offset:280
	global_load_dwordx2 v[6:7], v[4:5], off
	v_mad_u64_u32 v[4:5], s[2:3], s12, v14, v[4:5]
	global_load_dwordx2 v[0:1], v[0:1], off
	v_add_u32_e32 v5, s4, v5
	global_load_dwordx2 v[54:55], v32, s[8:9] offset:560
	global_load_dwordx2 v[52:53], v32, s[8:9] offset:840
	global_load_dwordx2 v[8:9], v[4:5], off
	v_mad_u64_u32 v[4:5], s[2:3], s12, v14, v[4:5]
	v_add_u32_e32 v5, s4, v5
	global_load_dwordx2 v[10:11], v[4:5], off
	global_load_dwordx2 v[50:51], v32, s[8:9] offset:1120
	v_mad_u64_u32 v[4:5], s[2:3], s12, v14, v[4:5]
	v_add_u32_e32 v5, s4, v5
	global_load_dwordx2 v[12:13], v[4:5], off
	global_load_dwordx2 v[48:49], v32, s[8:9] offset:1400
	v_mad_u64_u32 v[4:5], s[2:3], s12, v14, v[4:5]
	v_add_u32_e32 v5, s4, v5
	global_load_dwordx2 v[44:45], v32, s[8:9] offset:1680
	global_load_dwordx2 v[14:15], v[4:5], off
	s_mov_b32 s2, 0x24924925
	v_mul_hi_u32 v4, v46, s2
	v_sub_u32_e32 v5, v46, v4
	v_lshrrev_b32_e32 v5, 1, v5
	v_add_u32_e32 v4, v5, v4
	v_lshrrev_b32_e32 v4, 2, v4
	v_mul_lo_u32 v4, v4, 7
	v_sub_u32_e32 v4, v46, v4
	v_mul_u32_u24_e32 v4, 0xf5, v4
	v_lshlrev_b32_e32 v77, 3, v4
	v_add_u32_e32 v76, v32, v77
	s_load_dwordx4 s[4:7], s[6:7], 0x0
	s_mov_b32 s2, 0xbf955555
	s_mov_b32 s12, 0x3f4a47b2
	;; [unrolled: 1-line block ×4, first 2 shown]
	s_load_dwordx2 s[0:1], s[0:1], 0x38
	v_cmp_gt_u16_e32 vcc, 14, v47
                                        ; implicit-def: $vgpr28
                                        ; implicit-def: $vgpr40
                                        ; implicit-def: $vgpr42
                                        ; implicit-def: $vgpr38
                                        ; implicit-def: $vgpr62
	s_waitcnt vmcnt(12)
	v_mul_f32_e32 v4, v3, v59
	v_mul_f32_e32 v5, v2, v59
	v_fmac_f32_e32 v4, v2, v58
	v_fma_f32 v5, v3, v58, -v5
	s_waitcnt vmcnt(9)
	v_mul_f32_e32 v2, v1, v57
	v_mul_f32_e32 v3, v0, v57
	v_fmac_f32_e32 v2, v0, v56
	v_fma_f32 v3, v1, v56, -v3
	ds_write2_b64 v76, v[4:5], v[2:3] offset1:35
	s_waitcnt vmcnt(8)
	v_mul_f32_e32 v0, v7, v55
	v_mul_f32_e32 v1, v6, v55
	s_waitcnt vmcnt(6)
	v_mul_f32_e32 v2, v9, v53
	v_mul_f32_e32 v3, v8, v53
	v_fmac_f32_e32 v0, v6, v54
	v_fma_f32 v1, v7, v54, -v1
	v_fmac_f32_e32 v2, v8, v52
	v_fma_f32 v3, v9, v52, -v3
	ds_write2_b64 v76, v[0:1], v[2:3] offset0:70 offset1:105
	s_waitcnt vmcnt(4)
	v_mul_f32_e32 v0, v11, v51
	v_mul_f32_e32 v1, v10, v51
	s_waitcnt vmcnt(2)
	v_mul_f32_e32 v2, v13, v49
	v_mul_f32_e32 v3, v12, v49
	v_fmac_f32_e32 v0, v10, v50
	v_fma_f32 v1, v11, v50, -v1
	v_fmac_f32_e32 v2, v12, v48
	v_fma_f32 v3, v13, v48, -v3
	ds_write2_b64 v76, v[0:1], v[2:3] offset0:140 offset1:175
	s_waitcnt vmcnt(0)
	v_mul_f32_e32 v0, v15, v45
	v_mul_f32_e32 v1, v14, v45
	v_fmac_f32_e32 v0, v14, v44
	v_fma_f32 v1, v15, v44, -v1
	ds_write_b64 v76, v[0:1] offset:1680
	s_waitcnt lgkmcnt(0)
	s_barrier
	ds_read2_b64 v[0:3], v76 offset1:35
	ds_read_b64 v[12:13], v76 offset:1680
	ds_read2_b64 v[4:7], v76 offset0:70 offset1:105
	ds_read2_b64 v[8:11], v76 offset0:140 offset1:175
	s_waitcnt lgkmcnt(0)
	s_barrier
	v_pk_add_f32 v[14:15], v[2:3], v[12:13]
	v_pk_add_f32 v[2:3], v[2:3], v[12:13] neg_lo:[0,1] neg_hi:[0,1]
	v_pk_add_f32 v[12:13], v[4:5], v[10:11]
	v_pk_add_f32 v[4:5], v[4:5], v[10:11] neg_lo:[0,1] neg_hi:[0,1]
	v_pk_add_f32 v[10:11], v[6:7], v[8:9]
	v_pk_add_f32 v[6:7], v[8:9], v[6:7] neg_lo:[0,1] neg_hi:[0,1]
	v_pk_add_f32 v[8:9], v[12:13], v[14:15]
	v_pk_add_f32 v[24:25], v[4:5], v[2:3] op_sel:[1,1] op_sel_hi:[0,0] neg_lo:[0,1] neg_hi:[0,1]
	v_pk_add_f32 v[8:9], v[10:11], v[8:9]
	v_pk_add_f32 v[16:17], v[12:13], v[14:15] neg_lo:[0,1] neg_hi:[0,1]
	v_pk_add_f32 v[14:15], v[14:15], v[10:11] neg_lo:[0,1] neg_hi:[0,1]
	v_pk_add_f32 v[18:19], v[6:7], v[4:5] op_sel:[1,1] op_sel_hi:[0,0]
	v_pk_add_f32 v[20:21], v[2:3], v[6:7] op_sel:[1,1] op_sel_hi:[0,0] neg_lo:[0,1] neg_hi:[0,1]
	v_pk_add_f32 v[0:1], v[0:1], v[8:9]
	v_pk_mul_f32 v[22:23], v[24:25], s[18:19] op_sel_hi:[1,0]
	v_pk_add_f32 v[2:3], v[18:19], v[2:3] op_sel:[0,1] op_sel_hi:[1,0]
	v_pk_mul_f32 v[14:15], v[14:15], s[12:13] op_sel_hi:[1,0]
	s_mov_b32 s12, 0x3f3bfb3b
	v_pk_mul_f32 v[18:19], v[20:21], s[16:17] op_sel_hi:[1,0]
	v_pk_fma_f32 v[8:9], v[8:9], s[2:3], v[0:1] op_sel_hi:[1,0,1]
	v_pk_fma_f32 v[20:21], v[20:21], s[16:17], v[22:23] op_sel_hi:[1,0,1] neg_lo:[1,0,1] neg_hi:[1,0,1]
	v_pk_add_f32 v[10:11], v[10:11], v[12:13] neg_lo:[0,1] neg_hi:[0,1]
	v_pk_add_f32 v[4:5], v[6:7], v[4:5] op_sel:[1,1] op_sel_hi:[0,0] neg_lo:[0,1] neg_hi:[0,1]
	s_mov_b32 s2, 0x3d64c772
	s_mov_b32 s16, 0xbf08b237
	v_pk_fma_f32 v[26:27], v[16:17], s[12:13], v[14:15] op_sel_hi:[1,0,1] neg_lo:[1,0,1] neg_hi:[1,0,1]
	v_pk_mul_f32 v[6:7], v[10:11], s[2:3] op_sel_hi:[1,0]
	v_pk_mul_f32 v[12:13], v[4:5], s[16:17] op_sel_hi:[1,0]
	v_pk_fma_f32 v[10:11], v[10:11], s[2:3], v[14:15] op_sel_hi:[1,0,1]
	v_pk_fma_f32 v[4:5], v[4:5], s[16:17], v[18:19] op_sel_hi:[1,0,1]
	v_pk_add_f32 v[22:23], v[26:27], v[8:9]
	v_pk_fma_f32 v[20:21], v[2:3], s[14:15], v[20:21] op_sel_hi:[1,0,1]
	v_pk_add_f32 v[10:11], v[10:11], v[8:9]
	v_pk_fma_f32 v[4:5], v[2:3], s[14:15], v[4:5] op_sel_hi:[1,0,1]
	v_pk_add_f32 v[34:35], v[22:23], v[20:21] neg_lo:[0,1] neg_hi:[0,1]
	v_pk_add_f32 v[20:21], v[22:23], v[20:21]
	v_pk_add_f32 v[14:15], v[10:11], v[4:5]
	v_pk_add_f32 v[22:23], v[10:11], v[4:5] neg_lo:[0,1] neg_hi:[0,1]
	v_mul_lo_u16_e32 v4, 7, v47
	v_lshl_add_u32 v63, v4, 3, v77
	v_mov_b32_e32 v4, v14
	v_mov_b32_e32 v5, v23
	ds_write2_b64 v63, v[0:1], v[4:5] offset1:1
	v_pk_fma_f32 v[0:1], v[16:17], s[12:13], v[6:7] op_sel_hi:[1,0,1] neg_lo:[0,0,1] neg_hi:[0,0,1]
	v_pk_fma_f32 v[4:5], v[24:25], s[18:19], v[12:13] op_sel_hi:[1,0,1] neg_lo:[0,0,1] neg_hi:[0,0,1]
	v_pk_add_f32 v[0:1], v[0:1], v[8:9]
	v_pk_fma_f32 v[2:3], v[2:3], s[14:15], v[4:5] op_sel_hi:[1,0,1]
	v_mov_b32_e32 v23, v15
	v_pk_add_f32 v[4:5], v[0:1], v[2:3] neg_lo:[0,1] neg_hi:[0,1]
	v_pk_add_f32 v[0:1], v[0:1], v[2:3]
	v_mov_b32_e32 v2, v20
	v_mov_b32_e32 v3, v35
	;; [unrolled: 1-line block ×6, first 2 shown]
	ds_write2_b64 v63, v[2:3], v[6:7] offset0:2 offset1:3
	ds_write2_b64 v63, v[0:1], v[34:35] offset0:4 offset1:5
	ds_write_b64 v63, v[22:23] offset:48
	s_waitcnt lgkmcnt(0)
	s_barrier
	ds_read2_b64 v[16:19], v76 offset1:49
	ds_read2_b64 v[24:27], v76 offset0:98 offset1:147
	ds_read_b64 v[36:37], v76 offset:1568
	v_mov_b32_e32 v20, v15
	s_and_saveexec_b64 s[2:3], vcc
	s_cbranch_execz .LBB0_3
; %bb.2:
	ds_read2_b64 v[20:23], v76 offset0:35 offset1:84
	ds_read2_b64 v[28:31], v76 offset0:133 offset1:182
	ds_read_b64 v[38:39], v76 offset:1848
	s_waitcnt lgkmcnt(2)
	v_mov_b32_e32 v34, v20
	v_mov_b32_e32 v35, v21
	;; [unrolled: 1-line block ×3, first 2 shown]
	s_waitcnt lgkmcnt(1)
	v_mov_b32_e32 v40, v29
	v_mov_b32_e32 v42, v31
	s_waitcnt lgkmcnt(0)
	v_mov_b32_e32 v62, v39
.LBB0_3:
	s_or_b64 exec, exec, s[2:3]
	v_mov_b32_e32 v0, 37
	v_mul_lo_u16_sdwa v1, v47, v0 dst_sel:DWORD dst_unused:UNUSED_PAD src0_sel:BYTE_0 src1_sel:DWORD
	v_sub_u16_sdwa v2, v47, v1 dst_sel:DWORD dst_unused:UNUSED_PAD src0_sel:DWORD src1_sel:BYTE_1
	v_lshrrev_b16_e32 v2, 1, v2
	v_and_b32_e32 v2, 0x7f, v2
	v_add_u16_sdwa v1, v2, v1 dst_sel:DWORD dst_unused:UNUSED_PAD src0_sel:DWORD src1_sel:BYTE_1
	v_add_u16_e32 v2, 35, v47
	v_mul_lo_u16_sdwa v0, v2, v0 dst_sel:DWORD dst_unused:UNUSED_PAD src0_sel:BYTE_0 src1_sel:DWORD
	v_sub_u16_sdwa v3, v2, v0 dst_sel:DWORD dst_unused:UNUSED_PAD src0_sel:DWORD src1_sel:BYTE_1
	v_lshrrev_b16_e32 v3, 1, v3
	v_and_b32_e32 v3, 0x7f, v3
	v_add_u16_sdwa v0, v3, v0 dst_sel:DWORD dst_unused:UNUSED_PAD src0_sel:DWORD src1_sel:BYTE_1
	v_lshrrev_b16_e32 v21, 2, v1
	v_lshrrev_b16_e32 v78, 2, v0
	v_mul_lo_u16_e32 v1, 7, v21
	v_mul_lo_u16_e32 v0, 7, v78
	v_sub_u16_e32 v23, v47, v1
	v_mov_b32_e32 v1, 5
	v_sub_u16_e32 v79, v2, v0
	v_lshlrev_b32_sdwa v29, v1, v23 dst_sel:DWORD dst_unused:UNUSED_PAD src0_sel:DWORD src1_sel:BYTE_0
	v_lshlrev_b32_sdwa v31, v1, v79 dst_sel:DWORD dst_unused:UNUSED_PAD src0_sel:DWORD src1_sel:BYTE_0
	global_load_dwordx4 v[8:11], v29, s[10:11]
	global_load_dwordx4 v[4:7], v31, s[10:11]
	global_load_dwordx4 v[0:3], v31, s[10:11] offset:16
	global_load_dwordx4 v[12:15], v29, s[10:11] offset:16
	v_mul_u32_u24_e32 v21, 35, v21
	v_add_u32_sdwa v21, v21, v23 dst_sel:DWORD dst_unused:UNUSED_PAD src0_sel:DWORD src1_sel:BYTE_0
	v_lshl_add_u32 v80, v21, 3, v77
	s_mov_b32 s12, 0x3f737871
	s_mov_b32 s2, 0x3f167918
	;; [unrolled: 1-line block ×3, first 2 shown]
	s_waitcnt lgkmcnt(0)
	s_barrier
	s_waitcnt vmcnt(2)
	v_pk_mul_f32 v[20:21], v[20:21], v[4:5] op_sel_hi:[0,1]
	v_mov_b32_e32 v60, v11
	v_pk_mul_f32 v[64:65], v[40:41], v[6:7] op_sel_hi:[0,1]
	s_waitcnt vmcnt(1)
	v_pk_mul_f32 v[66:67], v[42:43], v[0:1] op_sel_hi:[0,1]
	v_pk_mul_f32 v[68:69], v[62:63], v[2:3] op_sel_hi:[0,1]
	s_waitcnt vmcnt(0)
	v_pk_mul_f32 v[70:71], v[26:27], v[12:13] op_sel:[0,1]
	v_pk_mul_f32 v[72:73], v[18:19], v[8:9] op_sel:[0,1]
	v_mov_b32_e32 v62, v15
	v_pk_fma_f32 v[40:41], v[22:23], v[4:5], v[20:21] op_sel:[0,0,1] op_sel_hi:[1,1,0] neg_lo:[0,0,1] neg_hi:[0,0,1]
	v_pk_fma_f32 v[20:21], v[22:23], v[4:5], v[20:21] op_sel:[0,0,1] op_sel_hi:[0,1,0]
	v_pk_fma_f32 v[42:43], v[28:29], v[6:7], v[64:65] op_sel:[0,0,1] op_sel_hi:[1,1,0] neg_lo:[0,0,1] neg_hi:[0,0,1]
	v_pk_fma_f32 v[22:23], v[28:29], v[6:7], v[64:65] op_sel:[0,0,1] op_sel_hi:[0,1,0]
	;; [unrolled: 2-line block ×4, first 2 shown]
	v_pk_mul_f32 v[66:67], v[24:25], v[60:61] op_sel_hi:[1,0]
	v_pk_fma_f32 v[68:69], v[26:27], v[12:13], v[70:71] op_sel:[0,0,1] op_sel_hi:[1,1,0] neg_lo:[0,0,1] neg_hi:[0,0,1]
	v_pk_fma_f32 v[26:27], v[26:27], v[12:13], v[70:71] op_sel:[0,0,1] op_sel_hi:[1,0,0]
	v_pk_fma_f32 v[70:71], v[18:19], v[8:9], v[72:73] op_sel:[0,0,1] op_sel_hi:[1,1,0] neg_lo:[0,0,1] neg_hi:[0,0,1]
	v_pk_fma_f32 v[18:19], v[18:19], v[8:9], v[72:73] op_sel:[0,0,1] op_sel_hi:[1,0,0]
	v_pk_mul_f32 v[72:73], v[36:37], v[62:63] op_sel_hi:[1,0]
	v_mov_b32_e32 v41, v21
	v_mov_b32_e32 v43, v23
	;; [unrolled: 1-line block ×4, first 2 shown]
	v_pk_fma_f32 v[38:39], v[24:25], v[10:11], v[66:67] op_sel:[0,0,1] op_sel_hi:[1,1,0] neg_lo:[0,0,1] neg_hi:[0,0,1]
	v_pk_fma_f32 v[20:21], v[24:25], v[10:11], v[66:67] op_sel:[0,0,1] op_sel_hi:[1,0,0]
	v_pk_fma_f32 v[64:65], v[36:37], v[14:15], v[72:73] op_sel:[0,0,1] op_sel_hi:[1,1,0] neg_lo:[0,0,1] neg_hi:[0,0,1]
	v_pk_fma_f32 v[22:23], v[36:37], v[14:15], v[72:73] op_sel:[0,0,1] op_sel_hi:[1,0,0]
	v_mov_b32_e32 v71, v19
	v_mov_b32_e32 v69, v27
	v_pk_add_f32 v[26:27], v[40:41], v[30:31]
	v_pk_add_f32 v[36:37], v[42:43], v[40:41] neg_lo:[0,1] neg_hi:[0,1]
	v_pk_add_f32 v[66:67], v[28:29], v[30:31] neg_lo:[0,1] neg_hi:[0,1]
	v_mov_b32_e32 v39, v21
	v_mov_b32_e32 v65, v23
	v_pk_add_f32 v[18:19], v[42:43], v[28:29] neg_lo:[0,1] neg_hi:[0,1]
	v_pk_add_f32 v[20:21], v[16:17], v[70:71]
	v_pk_fma_f32 v[22:23], v[26:27], 0.5, v[34:35] op_sel_hi:[1,0,1] neg_lo:[1,0,0] neg_hi:[1,0,0]
	v_pk_add_f32 v[26:27], v[36:37], v[66:67]
	v_pk_add_f32 v[36:37], v[70:71], v[38:39] neg_lo:[0,1] neg_hi:[0,1]
	v_pk_add_f32 v[66:67], v[64:65], v[68:69] neg_lo:[0,1] neg_hi:[0,1]
	v_pk_add_f32 v[72:73], v[38:39], v[68:69]
	v_pk_add_f32 v[74:75], v[70:71], v[64:65] neg_lo:[0,1] neg_hi:[0,1]
	v_pk_add_f32 v[24:25], v[40:41], v[30:31] neg_lo:[0,1] neg_hi:[0,1]
	;; [unrolled: 1-line block ×3, first 2 shown]
	v_pk_add_f32 v[84:85], v[20:21], v[38:39]
	v_pk_fma_f32 v[20:21], v[18:19], s[12:13], v[22:23] op_sel:[1,0,0] op_sel_hi:[0,0,1] neg_lo:[1,0,0] neg_hi:[1,0,0]
	v_pk_fma_f32 v[22:23], v[18:19], s[12:13], v[22:23] op_sel:[1,0,0] op_sel_hi:[0,0,1]
	v_pk_add_f32 v[86:87], v[36:37], v[66:67]
	v_pk_fma_f32 v[36:37], v[72:73], 0.5, v[16:17] op_sel_hi:[1,0,1] neg_lo:[1,0,0] neg_hi:[1,0,0]
	v_pk_mul_f32 v[66:67], v[74:75], s[12:13] op_sel_hi:[1,0]
	v_pk_mul_f32 v[72:73], v[82:83], s[2:3] op_sel_hi:[1,0]
	v_pk_fma_f32 v[22:23], v[24:25], s[2:3], v[22:23] op_sel:[1,0,0] op_sel_hi:[0,0,1] neg_lo:[1,0,0] neg_hi:[1,0,0]
	v_pk_fma_f32 v[20:21], v[24:25], s[2:3], v[20:21] op_sel:[1,0,0] op_sel_hi:[0,0,1]
	v_pk_add_f32 v[88:89], v[36:37], v[66:67] op_sel:[0,1] op_sel_hi:[1,0]
	v_pk_add_f32 v[36:37], v[36:37], v[66:67] op_sel:[0,1] op_sel_hi:[1,0] neg_lo:[0,1] neg_hi:[0,1]
	v_mov_b32_e32 v66, v20
	v_mov_b32_e32 v67, v23
	;; [unrolled: 1-line block ×3, first 2 shown]
	v_pk_add_f32 v[90:91], v[36:37], v[72:73] op_sel:[0,1] op_sel_hi:[1,0] neg_lo:[0,1] neg_hi:[0,1]
	v_pk_add_f32 v[72:73], v[88:89], v[72:73] op_sel:[0,1] op_sel_hi:[1,0]
	v_pk_fma_f32 v[20:21], v[26:27], s[14:15], v[66:67] op_sel_hi:[1,0,1]
	v_pk_fma_f32 v[22:23], v[26:27], s[14:15], v[22:23] op_sel_hi:[1,0,1]
	v_pk_add_f32 v[26:27], v[84:85], v[68:69]
	v_mov_b32_e32 v36, v72
	v_mov_b32_e32 v37, v91
	v_pk_add_f32 v[26:27], v[26:27], v[64:65]
	v_pk_fma_f32 v[36:37], v[86:87], s[14:15], v[36:37] op_sel_hi:[1,0,1]
	ds_write2_b64 v80, v[26:27], v[36:37] offset1:7
	v_pk_add_f32 v[26:27], v[70:71], v[64:65]
	v_pk_add_f32 v[38:39], v[38:39], v[70:71] neg_lo:[0,1] neg_hi:[0,1]
	v_pk_fma_f32 v[36:37], v[26:27], 0.5, v[16:17] op_sel_hi:[1,0,1] neg_lo:[1,0,0] neg_hi:[1,0,0]
	v_pk_add_f32 v[16:17], v[40:41], v[42:43] neg_lo:[0,1] neg_hi:[0,1]
	v_pk_add_f32 v[26:27], v[30:31], v[28:29] neg_lo:[0,1] neg_hi:[0,1]
	;; [unrolled: 1-line block ×3, first 2 shown]
	v_pk_add_f32 v[26:27], v[16:17], v[26:27]
	v_pk_add_f32 v[16:17], v[42:43], v[28:29]
	;; [unrolled: 1-line block ×3, first 2 shown]
	v_pk_fma_f32 v[66:67], v[16:17], 0.5, v[34:35] op_sel_hi:[1,0,1] neg_lo:[1,0,0] neg_hi:[1,0,0]
	v_pk_mul_f32 v[64:65], v[82:83], s[12:13] op_sel_hi:[1,0]
	v_pk_fma_f32 v[16:17], v[24:25], s[12:13], v[66:67] op_sel:[1,0,0] op_sel_hi:[0,0,1] neg_lo:[1,0,0] neg_hi:[1,0,0]
	v_pk_fma_f32 v[24:25], v[24:25], s[12:13], v[66:67] op_sel:[1,0,0] op_sel_hi:[0,0,1]
	v_pk_add_f32 v[66:67], v[36:37], v[64:65] op_sel:[0,1] op_sel_hi:[1,0] neg_lo:[0,1] neg_hi:[0,1]
	v_pk_add_f32 v[36:37], v[36:37], v[64:65] op_sel:[0,1] op_sel_hi:[1,0]
	v_pk_mul_f32 v[64:65], v[74:75], s[2:3] op_sel_hi:[1,0]
	v_mov_b32_e32 v91, v73
	v_pk_add_f32 v[36:37], v[36:37], v[64:65] op_sel:[0,1] op_sel_hi:[1,0] neg_lo:[0,1] neg_hi:[0,1]
	v_pk_add_f32 v[64:65], v[66:67], v[64:65] op_sel:[0,1] op_sel_hi:[1,0]
	v_mov_b32_e32 v67, v37
	v_mov_b32_e32 v66, v64
	;; [unrolled: 1-line block ×3, first 2 shown]
	v_pk_fma_f32 v[64:65], v[38:39], s[14:15], v[66:67] op_sel_hi:[1,0,1]
	v_pk_fma_f32 v[36:37], v[38:39], s[14:15], v[36:37] op_sel_hi:[1,0,1]
	ds_write2_b64 v80, v[64:65], v[36:37] offset0:14 offset1:21
	v_pk_fma_f32 v[38:39], v[18:19], s[2:3], v[16:17] op_sel:[1,0,0] op_sel_hi:[0,0,1] neg_lo:[1,0,0] neg_hi:[1,0,0]
	v_pk_fma_f32 v[36:37], v[18:19], s[2:3], v[24:25] op_sel:[1,0,0] op_sel_hi:[0,0,1]
	v_mov_b32_e32 v39, v37
	v_lshl_add_u64 v[36:37], s[8:9], 0, v[32:33]
	v_mov_b32_e32 v66, v13
	v_pk_fma_f32 v[70:71], v[86:87], s[14:15], v[90:91] op_sel_hi:[1,0,1]
	v_mov_b32_e32 v68, v9
	v_pk_fma_f32 v[64:65], v[26:27], s[14:15], v[38:39] op_sel_hi:[1,0,1]
	ds_write_b64 v80, v[70:71] offset:224
	s_and_saveexec_b64 s[12:13], vcc
	s_cbranch_execz .LBB0_5
; %bb.4:
	v_pk_mul_f32 v[18:19], v[18:19], s[2:3] op_sel:[1,0] op_sel_hi:[0,0]
	v_pk_add_f32 v[34:35], v[34:35], v[40:41]
	v_mul_u32_u24_e32 v9, 35, v78
	v_pk_add_f32 v[34:35], v[34:35], v[42:43]
	v_pk_add_f32 v[24:25], v[24:25], v[18:19]
	v_pk_add_f32 v[16:17], v[16:17], v[18:19] neg_lo:[0,1] neg_hi:[0,1]
	v_pk_mul_f32 v[26:27], v[26:27], s[14:15] op_sel_hi:[1,0]
	v_add_u32_sdwa v9, v9, v79 dst_sel:DWORD dst_unused:UNUSED_PAD src0_sel:DWORD src1_sel:BYTE_0
	v_pk_add_f32 v[28:29], v[34:35], v[28:29]
	v_mov_b32_e32 v25, v17
	v_lshl_add_u32 v9, v9, 3, v77
	v_pk_add_f32 v[28:29], v[28:29], v[30:31]
	v_pk_add_f32 v[16:17], v[26:27], v[24:25]
	ds_write2_b64 v9, v[28:29], v[16:17] offset1:7
	ds_write2_b64 v9, v[20:21], v[22:23] offset0:14 offset1:21
	ds_write_b64 v9, v[64:65] offset:224
.LBB0_5:
	s_or_b64 exec, exec, s[12:13]
	v_mad_u64_u32 v[34:35], s[2:3], v47, 48, s[10:11]
	s_waitcnt lgkmcnt(0)
	s_barrier
	global_load_dwordx4 v[28:31], v[34:35], off offset:240
	global_load_dwordx4 v[24:27], v[34:35], off offset:224
	;; [unrolled: 1-line block ×3, first 2 shown]
	ds_read2_b64 v[38:41], v76 offset0:70 offset1:105
	ds_read2_b64 v[70:73], v76 offset0:140 offset1:175
	ds_read2_b64 v[82:85], v76 offset1:35
	ds_read_b64 v[34:35], v76 offset:1680
	s_mov_b32 s16, 0x3eae86e6
	s_waitcnt lgkmcnt(3)
	v_mov_b32_e32 v42, v39
	s_waitcnt lgkmcnt(2)
	v_mov_b32_e32 v43, v70
	v_mov_b32_e32 v74, v73
	;; [unrolled: 1-line block ×3, first 2 shown]
	s_mov_b32 s17, 0xbf08b237
	s_mov_b32 s10, s17
	;; [unrolled: 1-line block ×5, first 2 shown]
	s_add_u32 s2, s8, 0x7a8
	s_mov_b32 s8, 0x3f3bfb3b
	s_addc_u32 s3, s9, 0
	v_mov_b32_e32 v69, v68
	v_mov_b32_e32 v67, v66
	s_waitcnt vmcnt(2)
	v_mul_f32_e32 v91, v71, v30
	v_mul_f32_e32 v93, v70, v31
	s_waitcnt vmcnt(1)
	v_mul_f32_e32 v9, v39, v27
	s_waitcnt lgkmcnt(1)
	v_pk_mul_f32 v[94:95], v[84:85], v[24:25] op_sel_hi:[1,0]
	v_mov_b32_e32 v39, v71
	v_mov_b32_e32 v70, v27
	;; [unrolled: 1-line block ×3, first 2 shown]
	s_waitcnt vmcnt(0) lgkmcnt(0)
	v_pk_mul_f32 v[100:101], v[34:35], v[18:19] op_sel_hi:[1,0]
	v_mov_b32_e32 v90, v19
	v_mul_f32_e32 v87, v41, v28
	v_mul_f32_e32 v89, v40, v29
	;; [unrolled: 1-line block ×3, first 2 shown]
	v_mov_b32_e32 v73, v41
	v_mov_b32_e32 v40, v17
	;; [unrolled: 1-line block ×3, first 2 shown]
	v_fma_f32 v86, v38, v26, -v9
	v_pk_fma_f32 v[102:103], v[84:85], v[24:25], v[94:95] op_sel:[0,1,1] op_sel_hi:[1,1,0]
	v_pk_fma_f32 v[84:85], v[84:85], v[24:25], v[94:95] op_sel:[0,1,1] op_sel_hi:[1,1,0] neg_lo:[1,0,0] neg_hi:[1,0,0]
	v_pk_mul_f32 v[38:39], v[38:39], v[70:71]
	v_pk_fma_f32 v[70:71], v[34:35], v[90:91], v[100:101] op_sel:[0,0,1] op_sel_hi:[1,0,0]
	v_pk_fma_f32 v[34:35], v[34:35], v[90:91], v[100:101] op_sel:[0,0,1] op_sel_hi:[1,0,0] neg_lo:[1,0,0] neg_hi:[1,0,0]
	v_mov_b32_e32 v96, v26
	v_mov_b32_e32 v97, v30
	;; [unrolled: 1-line block ×4, first 2 shown]
	v_fma_f32 v88, v72, v16, -v11
	v_pk_mul_f32 v[40:41], v[72:73], v[40:41]
	v_mov_b32_e32 v90, v85
	v_mov_b32_e32 v92, v35
	v_pk_add_f32 v[72:73], v[86:87], v[88:89]
	v_pk_fma_f32 v[94:95], v[42:43], v[26:27], v[38:39]
	v_pk_fma_f32 v[38:39], v[42:43], v[96:97], v[38:39] neg_lo:[0,0,1] neg_hi:[0,0,1]
	v_pk_fma_f32 v[42:43], v[74:75], v[16:17], v[40:41]
	v_pk_fma_f32 v[40:41], v[74:75], v[98:99], v[40:41] neg_lo:[0,0,1] neg_hi:[0,0,1]
	v_mov_b32_e32 v71, v35
	v_mov_b32_e32 v35, v86
	v_pk_add_f32 v[86:87], v[90:91], v[92:93]
	v_mov_b32_e32 v103, v85
	v_mov_b32_e32 v75, v88
	;; [unrolled: 1-line block ×6, first 2 shown]
	v_pk_add_f32 v[84:85], v[102:103], v[70:71]
	v_pk_add_f32 v[70:71], v[102:103], v[70:71] neg_lo:[0,1] neg_hi:[0,1]
	v_pk_add_f32 v[88:89], v[94:95], v[42:43]
	v_pk_add_f32 v[34:35], v[34:35], v[74:75] neg_lo:[0,1] neg_hi:[0,1]
	v_mov_b32_e32 v38, v41
	v_mov_b32_e32 v40, v39
	v_pk_add_f32 v[42:43], v[94:95], v[42:43] neg_lo:[0,1] neg_hi:[0,1]
	v_mov_b32_e32 v93, v71
	v_mov_b32_e32 v41, v84
	;; [unrolled: 1-line block ×4, first 2 shown]
	v_pk_add_f32 v[94:95], v[72:73], v[86:87]
	v_pk_add_f32 v[38:39], v[38:39], v[40:41]
	v_pk_add_f32 v[92:93], v[92:93], v[42:43] neg_lo:[0,1] neg_hi:[0,1]
	v_mov_b32_e32 v97, v84
	v_mov_b32_e32 v73, v95
	;; [unrolled: 1-line block ×3, first 2 shown]
	v_pk_mul_f32 v[92:93], v[92:93], s[10:11]
	s_mov_b32 s10, 0x3d64c772
	v_mov_b32_e32 v90, v70
	v_mov_b32_e32 v91, v43
	v_pk_add_f32 v[96:97], v[96:97], v[72:73] neg_lo:[0,1] neg_hi:[0,1]
	v_mov_b32_e32 v87, v95
	v_mov_b32_e32 v98, v38
	v_mov_b32_e32 v99, v88
	v_pk_add_f32 v[38:39], v[94:95], v[38:39]
	s_mov_b32 s11, 0x3f4a47b2
	v_pk_add_f32 v[74:75], v[90:91], v[34:35] neg_lo:[0,1] neg_hi:[0,1]
	v_pk_add_f32 v[90:91], v[42:43], v[34:35]
	v_pk_add_f32 v[98:99], v[86:87], v[98:99] neg_lo:[0,1] neg_hi:[0,1]
	v_pk_add_f32 v[82:83], v[82:83], v[38:39]
	v_pk_mul_f32 v[94:95], v[96:97], s[10:11]
	s_mov_b32 s18, s11
	s_mov_b32 s19, s10
	v_pk_mul_f32 v[40:41], v[74:75], s[16:17]
	v_pk_add_f32 v[90:91], v[90:91], v[70:71]
	v_pk_mul_f32 v[96:97], v[98:99], s[18:19]
	v_pk_fma_f32 v[38:39], v[38:39], s[12:13], v[82:83] op_sel_hi:[1,0,1] neg_lo:[1,0,0] neg_hi:[1,0,0]
	v_pk_fma_f32 v[98:99], v[98:99], s[18:19], v[94:95]
	v_pk_fma_f32 v[74:75], v[74:75], s[16:17], v[92:93]
	v_mov_b32_e32 v43, v35
	v_mov_b32_e32 v73, v88
	;; [unrolled: 1-line block ×3, first 2 shown]
	v_pk_add_f32 v[98:99], v[98:99], v[38:39]
	v_pk_fma_f32 v[74:75], v[90:91], s[14:15], v[74:75] op_sel_hi:[1,0,1]
	v_pk_add_f32 v[34:35], v[42:43], v[70:71] neg_lo:[0,1] neg_hi:[0,1]
	s_mov_b32 s16, 0x3f5ff5aa
	v_pk_add_f32 v[42:43], v[72:73], v[86:87] neg_lo:[0,1] neg_hi:[0,1]
	v_mov_b32_e32 v70, v96
	v_mov_b32_e32 v71, v95
	;; [unrolled: 1-line block ×6, first 2 shown]
	v_pk_add_f32 v[100:101], v[98:99], v[74:75]
	v_pk_add_f32 v[74:75], v[98:99], v[74:75] neg_lo:[0,1] neg_hi:[0,1]
	v_pk_fma_f32 v[70:71], v[42:43], s[8:9], v[70:71] op_sel_hi:[1,0,1] neg_lo:[1,0,1] neg_hi:[1,0,1]
	v_pk_fma_f32 v[72:73], v[34:35], s[16:17], v[72:73] op_sel_hi:[1,0,1] neg_lo:[1,0,1] neg_hi:[1,0,1]
	;; [unrolled: 1-line block ×4, first 2 shown]
	v_mov_b32_e32 v98, v100
	v_mov_b32_e32 v99, v75
	v_pk_add_f32 v[70:71], v[70:71], v[38:39]
	v_pk_fma_f32 v[72:73], v[90:91], s[14:15], v[72:73] op_sel_hi:[1,0,1]
	v_pk_add_f32 v[38:39], v[42:43], v[38:39]
	v_pk_fma_f32 v[34:35], v[90:91], s[14:15], v[34:35] op_sel_hi:[1,0,1]
	ds_write2_b64 v76, v[82:83], v[98:99] offset1:35
	v_pk_add_f32 v[82:83], v[70:71], v[72:73]
	v_pk_add_f32 v[70:71], v[70:71], v[72:73] neg_lo:[0,1] neg_hi:[0,1]
	v_pk_add_f32 v[40:41], v[38:39], v[34:35] neg_lo:[0,1] neg_hi:[0,1]
	v_pk_add_f32 v[34:35], v[38:39], v[34:35]
	v_mov_b32_e32 v72, v82
	v_mov_b32_e32 v73, v71
	;; [unrolled: 1-line block ×7, first 2 shown]
	ds_write2_b64 v76, v[72:73], v[38:39] offset0:70 offset1:105
	ds_write2_b64 v76, v[34:35], v[70:71] offset0:140 offset1:175
	ds_write_b64 v76, v[74:75] offset:1680
	s_waitcnt lgkmcnt(0)
	s_barrier
	global_load_dwordx2 v[70:71], v[36:37], off offset:1960
	global_load_dwordx2 v[72:73], v32, s[2:3] offset:280
	global_load_dwordx2 v[74:75], v32, s[2:3] offset:560
	;; [unrolled: 1-line block ×6, first 2 shown]
	ds_read2_b64 v[32:35], v76 offset1:35
	ds_read2_b64 v[36:39], v76 offset0:70 offset1:105
	ds_read2_b64 v[40:43], v76 offset0:140 offset1:175
	s_mov_b32 s2, s11
	s_mov_b32 s14, 0xbeae86e6
	s_mov_b32 s16, 0xbf5ff5aa
	v_mov_b32_e32 v9, v8
	s_waitcnt vmcnt(5) lgkmcnt(2)
	v_mul_f32_e32 v13, v35, v73
	s_waitcnt vmcnt(4) lgkmcnt(1)
	v_mul_f32_e32 v15, v37, v75
	s_waitcnt vmcnt(3)
	v_mul_f32_e32 v61, v39, v83
	v_mul_f32_e32 v11, v33, v71
	;; [unrolled: 1-line block ×4, first 2 shown]
	v_fma_f32 v90, v32, v70, -v11
	v_fmac_f32_e32 v91, v33, v70
	v_fma_f32 v70, v34, v72, -v13
	v_fmac_f32_e32 v71, v35, v72
	ds_read_b64 v[34:35], v76 offset:1680
	v_mul_f32_e32 v73, v36, v75
	v_mul_f32_e32 v33, v38, v83
	v_fma_f32 v72, v36, v74, -v15
	v_fmac_f32_e32 v73, v37, v74
	v_fma_f32 v32, v38, v82, -v61
	v_fmac_f32_e32 v33, v39, v82
	s_waitcnt vmcnt(2) lgkmcnt(1)
	v_mul_f32_e32 v11, v41, v85
	ds_write2_b64 v76, v[72:73], v[32:33] offset0:70 offset1:105
	v_fma_f32 v32, v40, v84, -v11
	v_mul_f32_e32 v33, v40, v85
	s_waitcnt vmcnt(1)
	v_mul_f32_e32 v11, v43, v87
	v_mul_f32_e32 v37, v42, v87
	v_fmac_f32_e32 v33, v41, v84
	v_fma_f32 v36, v42, v86, -v11
	v_fmac_f32_e32 v37, v43, v86
	ds_write2_b64 v76, v[32:33], v[36:37] offset0:140 offset1:175
	s_waitcnt vmcnt(0) lgkmcnt(2)
	v_mul_f32_e32 v11, v35, v89
	v_mul_f32_e32 v33, v34, v89
	v_fma_f32 v32, v34, v88, -v11
	v_fmac_f32_e32 v33, v35, v88
	ds_write2_b64 v76, v[90:91], v[70:71] offset1:35
	ds_write_b64 v76, v[32:33] offset:1680
	s_waitcnt lgkmcnt(0)
	s_barrier
	ds_read2_b64 v[32:35], v76 offset1:35
	ds_read_b64 v[70:71], v76 offset:1680
	ds_read2_b64 v[36:39], v76 offset0:70 offset1:105
	ds_read2_b64 v[40:43], v76 offset0:140 offset1:175
	s_waitcnt lgkmcnt(0)
	s_barrier
	v_pk_add_f32 v[72:73], v[34:35], v[70:71]
	v_pk_add_f32 v[34:35], v[34:35], v[70:71] neg_lo:[0,1] neg_hi:[0,1]
	v_pk_add_f32 v[74:75], v[36:37], v[42:43]
	v_pk_add_f32 v[36:37], v[36:37], v[42:43] neg_lo:[0,1] neg_hi:[0,1]
	;; [unrolled: 2-line block ×5, first 2 shown]
	v_pk_add_f32 v[72:73], v[38:39], v[36:37] op_sel:[1,1] op_sel_hi:[0,0]
	v_pk_add_f32 v[84:85], v[34:35], v[38:39] op_sel:[1,1] op_sel_hi:[0,0] neg_lo:[0,1] neg_hi:[0,1]
	v_pk_add_f32 v[90:91], v[32:33], v[40:41]
	v_pk_add_f32 v[86:87], v[36:37], v[34:35] op_sel:[1,1] op_sel_hi:[0,0] neg_lo:[0,1] neg_hi:[0,1]
	v_pk_add_f32 v[88:89], v[72:73], v[34:35] op_sel:[0,1] op_sel_hi:[1,0]
	v_pk_mul_f32 v[34:35], v[70:71], s[2:3] op_sel_hi:[1,0]
	v_pk_mul_f32 v[72:73], v[84:85], s[14:15] op_sel_hi:[1,0]
	v_pk_fma_f32 v[40:41], v[40:41], s[12:13], v[90:91] op_sel_hi:[1,0,1] neg_lo:[1,0,0] neg_hi:[1,0,0]
	v_pk_add_f32 v[42:43], v[42:43], v[74:75] neg_lo:[0,1] neg_hi:[0,1]
	v_pk_add_f32 v[36:37], v[38:39], v[36:37] op_sel:[1,1] op_sel_hi:[0,0] neg_lo:[0,1] neg_hi:[0,1]
	s_mov_b32 s12, 0x3f08b237
	s_mov_b32 s2, 0xbee1c552
	v_pk_fma_f32 v[70:71], v[82:83], s[8:9], v[34:35] op_sel_hi:[1,0,1] neg_lo:[1,0,1] neg_hi:[1,0,1]
	v_pk_mul_f32 v[74:75], v[36:37], s[12:13] op_sel_hi:[1,0]
	v_pk_fma_f32 v[34:35], v[42:43], s[10:11], v[34:35] op_sel_hi:[1,0,1]
	v_pk_fma_f32 v[36:37], v[36:37], s[12:13], v[72:73] op_sel_hi:[1,0,1]
	v_pk_add_f32 v[34:35], v[34:35], v[40:41]
	v_pk_fma_f32 v[36:37], v[88:89], s[2:3], v[36:37] op_sel_hi:[1,0,1]
	v_pk_mul_f32 v[32:33], v[86:87], s[16:17] op_sel_hi:[1,0]
	v_pk_add_f32 v[72:73], v[34:35], v[36:37]
	v_pk_add_f32 v[34:35], v[34:35], v[36:37] neg_lo:[0,1] neg_hi:[0,1]
	v_pk_mul_f32 v[38:39], v[42:43], s[10:11] op_sel_hi:[1,0]
	v_mov_b32_e32 v36, v72
	v_mov_b32_e32 v37, v35
	v_pk_fma_f32 v[32:33], v[84:85], s[14:15], v[32:33] op_sel_hi:[1,0,1] neg_lo:[1,0,1] neg_hi:[1,0,1]
	ds_write2_b64 v63, v[90:91], v[36:37] offset1:1
	v_pk_fma_f32 v[36:37], v[82:83], s[8:9], v[38:39] op_sel_hi:[1,0,1] neg_lo:[0,0,1] neg_hi:[0,0,1]
	v_pk_fma_f32 v[38:39], v[86:87], s[16:17], v[74:75] op_sel_hi:[1,0,1] neg_lo:[0,0,1] neg_hi:[0,0,1]
	v_pk_add_f32 v[84:85], v[70:71], v[40:41]
	v_pk_fma_f32 v[32:33], v[88:89], s[2:3], v[32:33] op_sel_hi:[1,0,1]
	v_pk_add_f32 v[36:37], v[36:37], v[40:41]
	v_pk_fma_f32 v[38:39], v[88:89], s[2:3], v[38:39] op_sel_hi:[1,0,1]
	v_pk_add_f32 v[70:71], v[84:85], v[32:33] neg_lo:[0,1] neg_hi:[0,1]
	v_pk_add_f32 v[32:33], v[84:85], v[32:33]
	v_pk_add_f32 v[40:41], v[36:37], v[38:39] neg_lo:[0,1] neg_hi:[0,1]
	v_pk_add_f32 v[36:37], v[36:37], v[38:39]
	v_mov_b32_e32 v38, v32
	v_mov_b32_e32 v39, v71
	;; [unrolled: 1-line block ×7, first 2 shown]
	ds_write2_b64 v63, v[38:39], v[42:43] offset0:2 offset1:3
	ds_write2_b64 v63, v[36:37], v[70:71] offset0:4 offset1:5
	ds_write_b64 v63, v[34:35] offset:48
	s_waitcnt lgkmcnt(0)
	s_barrier
	ds_read2_b64 v[36:39], v76 offset1:49
	ds_read2_b64 v[40:43], v76 offset0:98 offset1:147
	ds_read_b64 v[74:75], v76 offset:1568
	v_mov_b32_e32 v11, v10
	v_mov_b32_e32 v61, v60
	v_mov_b32_e32 v13, v12
	v_mov_b32_e32 v15, v14
	v_mov_b32_e32 v63, v62
	s_and_saveexec_b64 s[2:3], vcc
	s_cbranch_execz .LBB0_7
; %bb.6:
	ds_read2_b64 v[32:35], v76 offset0:35 offset1:84
	ds_read2_b64 v[20:23], v76 offset0:133 offset1:182
	ds_read_b64 v[64:65], v76 offset:1848
	s_waitcnt lgkmcnt(2)
	v_mov_b32_e32 v70, v32
	v_mov_b32_e32 v73, v35
.LBB0_7:
	s_or_b64 exec, exec, s[2:3]
	s_waitcnt lgkmcnt(2)
	v_pk_mul_f32 v[68:69], v[68:69], v[38:39]
	s_waitcnt lgkmcnt(1)
	v_pk_mul_f32 v[60:61], v[60:61], v[40:41]
	v_pk_fma_f32 v[82:83], v[8:9], v[38:39], v[68:69] op_sel:[0,0,1] op_sel_hi:[1,1,0]
	v_pk_fma_f32 v[8:9], v[8:9], v[38:39], v[68:69] op_sel:[0,0,1] op_sel_hi:[1,1,0] neg_lo:[0,0,1] neg_hi:[0,0,1]
	v_pk_mul_f32 v[66:67], v[66:67], v[42:43]
	v_mov_b32_e32 v83, v9
	v_pk_fma_f32 v[8:9], v[10:11], v[40:41], v[60:61] op_sel:[0,0,1] op_sel_hi:[1,1,0]
	v_pk_fma_f32 v[10:11], v[10:11], v[40:41], v[60:61] op_sel:[0,0,1] op_sel_hi:[1,1,0] neg_lo:[0,0,1] neg_hi:[0,0,1]
	s_waitcnt lgkmcnt(0)
	v_pk_mul_f32 v[62:63], v[62:63], v[74:75]
	v_mov_b32_e32 v9, v11
	v_pk_fma_f32 v[10:11], v[12:13], v[42:43], v[66:67] op_sel:[0,0,1] op_sel_hi:[1,1,0]
	v_pk_fma_f32 v[12:13], v[12:13], v[42:43], v[66:67] op_sel:[0,0,1] op_sel_hi:[1,1,0] neg_lo:[0,0,1] neg_hi:[0,0,1]
	s_mov_b32 s8, 0x3f737871
	v_mov_b32_e32 v11, v13
	v_pk_fma_f32 v[12:13], v[14:15], v[74:75], v[62:63] op_sel:[0,0,1] op_sel_hi:[1,1,0]
	v_pk_fma_f32 v[14:15], v[14:15], v[74:75], v[62:63] op_sel:[0,0,1] op_sel_hi:[1,1,0] neg_lo:[0,0,1] neg_hi:[0,0,1]
	v_pk_add_f32 v[38:39], v[8:9], v[10:11]
	v_mov_b32_e32 v13, v15
	v_pk_add_f32 v[40:41], v[82:83], v[12:13] neg_lo:[0,1] neg_hi:[0,1]
	v_pk_fma_f32 v[38:39], v[38:39], 0.5, v[36:37] op_sel_hi:[1,0,1] neg_lo:[1,0,0] neg_hi:[1,0,0]
	v_pk_mul_f32 v[42:43], v[40:41], s[8:9] op_sel_hi:[1,0]
	v_pk_add_f32 v[60:61], v[8:9], v[10:11] neg_lo:[0,1] neg_hi:[0,1]
	s_mov_b32 s10, 0x3f167918
	v_pk_add_f32 v[66:67], v[82:83], v[8:9] neg_lo:[0,1] neg_hi:[0,1]
	v_pk_add_f32 v[68:69], v[12:13], v[10:11] neg_lo:[0,1] neg_hi:[0,1]
	v_pk_add_f32 v[14:15], v[36:37], v[82:83]
	v_pk_mul_f32 v[62:63], v[60:61], s[10:11] op_sel_hi:[1,0]
	v_pk_add_f32 v[66:67], v[66:67], v[68:69]
	v_pk_add_f32 v[68:69], v[38:39], v[42:43] op_sel:[0,1] op_sel_hi:[1,0] neg_lo:[0,1] neg_hi:[0,1]
	v_pk_add_f32 v[38:39], v[38:39], v[42:43] op_sel:[0,1] op_sel_hi:[1,0]
	v_pk_add_f32 v[14:15], v[14:15], v[8:9]
	v_pk_add_f32 v[38:39], v[38:39], v[62:63] op_sel:[0,1] op_sel_hi:[1,0]
	v_pk_add_f32 v[42:43], v[68:69], v[62:63] op_sel:[0,1] op_sel_hi:[1,0] neg_lo:[0,1] neg_hi:[0,1]
	v_pk_add_f32 v[14:15], v[14:15], v[10:11]
	s_mov_b32 s2, 0x3e9e377a
	v_mov_b32_e32 v62, v42
	v_mov_b32_e32 v63, v39
	v_pk_add_f32 v[14:15], v[14:15], v[12:13]
	v_pk_fma_f32 v[62:63], v[66:67], s[2:3], v[62:63] op_sel_hi:[1,0,1]
	s_barrier
	ds_write2_b64 v80, v[14:15], v[62:63] offset1:7
	v_pk_add_f32 v[14:15], v[82:83], v[12:13]
	v_pk_add_f32 v[8:9], v[8:9], v[82:83] neg_lo:[0,1] neg_hi:[0,1]
	v_pk_add_f32 v[10:11], v[10:11], v[12:13] neg_lo:[0,1] neg_hi:[0,1]
	v_pk_fma_f32 v[14:15], v[14:15], 0.5, v[36:37] op_sel_hi:[1,0,1] neg_lo:[1,0,0] neg_hi:[1,0,0]
	v_pk_add_f32 v[8:9], v[8:9], v[10:11]
	v_pk_mul_f32 v[10:11], v[60:61], s[8:9] op_sel_hi:[1,0]
	v_pk_mul_f32 v[12:13], v[40:41], s[10:11] op_sel_hi:[1,0]
	v_pk_add_f32 v[36:37], v[14:15], v[10:11] op_sel:[0,1] op_sel_hi:[1,0]
	v_pk_add_f32 v[10:11], v[14:15], v[10:11] op_sel:[0,1] op_sel_hi:[1,0] neg_lo:[0,1] neg_hi:[0,1]
	v_mov_b32_e32 v39, v43
	v_pk_add_f32 v[10:11], v[10:11], v[12:13] op_sel:[0,1] op_sel_hi:[1,0]
	v_pk_add_f32 v[12:13], v[36:37], v[12:13] op_sel:[0,1] op_sel_hi:[1,0] neg_lo:[0,1] neg_hi:[0,1]
	v_mov_b32_e32 v15, v11
	v_mov_b32_e32 v14, v12
	;; [unrolled: 1-line block ×3, first 2 shown]
	v_pk_fma_f32 v[14:15], v[8:9], s[2:3], v[14:15] op_sel_hi:[1,0,1]
	v_pk_fma_f32 v[8:9], v[8:9], s[2:3], v[10:11] op_sel_hi:[1,0,1]
	ds_write2_b64 v80, v[14:15], v[8:9] offset0:14 offset1:21
	v_pk_fma_f32 v[8:9], v[66:67], s[2:3], v[38:39] op_sel_hi:[1,0,1]
	ds_write_b64 v80, v[8:9] offset:224
	s_and_saveexec_b64 s[12:13], vcc
	s_cbranch_execz .LBB0_9
; %bb.8:
	v_mul_u32_u24_e32 v32, 35, v78
	v_pk_mul_f32 v[8:9], v[6:7], v[20:21] op_sel:[0,1]
	v_mov_b32_e32 v10, v73
	v_add_u32_sdwa v32, v32, v79 dst_sel:DWORD dst_unused:UNUSED_PAD src0_sel:DWORD src1_sel:BYTE_0
	v_mov_b32_e32 v71, v33
	v_pk_mul_f32 v[10:11], v[4:5], v[10:11] op_sel_hi:[1,0]
	v_lshl_add_u32 v36, v32, 3, v77
	v_pk_fma_f32 v[32:33], v[6:7], v[20:21], v[8:9] op_sel:[0,0,1] op_sel_hi:[1,1,0]
	v_pk_fma_f32 v[6:7], v[6:7], v[20:21], v[8:9] op_sel:[0,0,1] op_sel_hi:[1,0,0] neg_lo:[1,0,0] neg_hi:[1,0,0]
	v_pk_mul_f32 v[12:13], v[0:1], v[22:23] op_sel:[0,1]
	v_mov_b32_e32 v33, v7
	v_pk_fma_f32 v[6:7], v[4:5], v[34:35], v[10:11] op_sel:[0,0,1] op_sel_hi:[1,1,0]
	v_pk_fma_f32 v[4:5], v[4:5], v[34:35], v[10:11] op_sel:[0,0,1] op_sel_hi:[1,0,0] neg_lo:[1,0,0] neg_hi:[1,0,0]
	v_pk_mul_f32 v[14:15], v[2:3], v[64:65] op_sel:[0,1]
	v_mov_b32_e32 v7, v5
	v_pk_fma_f32 v[4:5], v[0:1], v[22:23], v[12:13] op_sel:[0,0,1] op_sel_hi:[1,1,0]
	v_pk_fma_f32 v[0:1], v[0:1], v[22:23], v[12:13] op_sel:[0,0,1] op_sel_hi:[1,0,0] neg_lo:[1,0,0] neg_hi:[1,0,0]
	v_pk_add_f32 v[22:23], v[6:7], v[32:33] neg_lo:[0,1] neg_hi:[0,1]
	v_mov_b32_e32 v5, v1
	v_pk_fma_f32 v[0:1], v[2:3], v[64:65], v[14:15] op_sel:[0,0,1] op_sel_hi:[1,1,0]
	v_pk_fma_f32 v[2:3], v[2:3], v[64:65], v[14:15] op_sel:[0,0,1] op_sel_hi:[1,0,0] neg_lo:[1,0,0] neg_hi:[1,0,0]
	v_pk_add_f32 v[12:13], v[32:33], v[4:5]
	v_mov_b32_e32 v1, v3
	v_pk_add_f32 v[10:11], v[6:7], v[0:1] neg_lo:[0,1] neg_hi:[0,1]
	v_pk_add_f32 v[8:9], v[32:33], v[4:5] neg_lo:[0,1] neg_hi:[0,1]
	v_pk_fma_f32 v[12:13], v[12:13], 0.5, v[70:71] op_sel_hi:[1,0,1] neg_lo:[1,0,0] neg_hi:[1,0,0]
	v_pk_mul_f32 v[14:15], v[10:11], s[8:9] op_sel_hi:[1,0]
	v_pk_add_f32 v[34:35], v[0:1], v[4:5] neg_lo:[0,1] neg_hi:[0,1]
	v_pk_add_f32 v[2:3], v[70:71], v[6:7]
	v_pk_mul_f32 v[20:21], v[8:9], s[10:11] op_sel_hi:[1,0]
	v_pk_add_f32 v[22:23], v[22:23], v[34:35]
	v_pk_add_f32 v[34:35], v[12:13], v[14:15] op_sel:[0,1] op_sel_hi:[1,0] neg_lo:[0,1] neg_hi:[0,1]
	v_pk_add_f32 v[12:13], v[12:13], v[14:15] op_sel:[0,1] op_sel_hi:[1,0]
	v_pk_add_f32 v[2:3], v[2:3], v[32:33]
	v_pk_add_f32 v[12:13], v[12:13], v[20:21] op_sel:[0,1] op_sel_hi:[1,0]
	v_pk_add_f32 v[14:15], v[34:35], v[20:21] op_sel:[0,1] op_sel_hi:[1,0] neg_lo:[0,1] neg_hi:[0,1]
	v_pk_add_f32 v[2:3], v[2:3], v[4:5]
	v_mov_b32_e32 v20, v14
	v_mov_b32_e32 v21, v13
	v_pk_add_f32 v[2:3], v[2:3], v[0:1]
	v_pk_fma_f32 v[20:21], v[22:23], s[2:3], v[20:21] op_sel_hi:[1,0,1]
	ds_write2_b64 v36, v[2:3], v[20:21] offset1:7
	v_pk_add_f32 v[2:3], v[32:33], v[6:7] neg_lo:[0,1] neg_hi:[0,1]
	v_pk_add_f32 v[4:5], v[4:5], v[0:1] neg_lo:[0,1] neg_hi:[0,1]
	v_pk_add_f32 v[0:1], v[6:7], v[0:1]
	v_pk_add_f32 v[2:3], v[2:3], v[4:5]
	v_pk_fma_f32 v[0:1], v[0:1], 0.5, v[70:71] op_sel_hi:[1,0,1] neg_lo:[1,0,0] neg_hi:[1,0,0]
	v_pk_mul_f32 v[4:5], v[8:9], s[8:9] op_sel_hi:[1,0]
	v_pk_mul_f32 v[6:7], v[10:11], s[10:11] op_sel_hi:[1,0]
	v_pk_add_f32 v[8:9], v[0:1], v[4:5] op_sel:[0,1] op_sel_hi:[1,0]
	v_pk_add_f32 v[0:1], v[0:1], v[4:5] op_sel:[0,1] op_sel_hi:[1,0] neg_lo:[0,1] neg_hi:[0,1]
	v_pk_add_f32 v[4:5], v[8:9], v[6:7] op_sel:[0,1] op_sel_hi:[1,0] neg_lo:[0,1] neg_hi:[0,1]
	v_pk_add_f32 v[0:1], v[0:1], v[6:7] op_sel:[0,1] op_sel_hi:[1,0]
	v_mov_b32_e32 v6, v4
	v_mov_b32_e32 v7, v1
	v_mov_b32_e32 v1, v5
	v_pk_fma_f32 v[6:7], v[2:3], s[2:3], v[6:7] op_sel_hi:[1,0,1]
	v_pk_fma_f32 v[0:1], v[2:3], s[2:3], v[0:1] op_sel_hi:[1,0,1]
	v_mov_b32_e32 v13, v15
	ds_write2_b64 v36, v[6:7], v[0:1] offset0:14 offset1:21
	v_pk_fma_f32 v[0:1], v[22:23], s[2:3], v[12:13] op_sel_hi:[1,0,1]
	ds_write_b64 v36, v[0:1] offset:224
.LBB0_9:
	s_or_b64 exec, exec, s[12:13]
	s_waitcnt lgkmcnt(0)
	s_barrier
	ds_read2_b64 v[0:3], v76 offset0:70 offset1:105
	ds_read2_b64 v[4:7], v76 offset1:35
	ds_read2_b64 v[8:11], v76 offset0:140 offset1:175
	ds_read_b64 v[20:21], v76 offset:1680
	v_mov_b32_e32 v32, v29
	v_mov_b32_e32 v12, s0
	;; [unrolled: 1-line block ×3, first 2 shown]
	s_waitcnt lgkmcnt(3)
	v_pk_mul_f32 v[34:35], v[28:29], v[2:3] op_sel:[0,1] op_sel_hi:[1,0]
	s_waitcnt lgkmcnt(1)
	v_pk_mul_f32 v[36:37], v[30:31], v[8:9] op_sel:[0,1] op_sel_hi:[1,0]
	v_mov_b32_e32 v34, v35
	v_pk_mul_f32 v[22:23], v[28:29], v[2:3]
	v_pk_mul_f32 v[32:33], v[32:33], v[2:3] op_sel:[0,1] op_sel_hi:[1,0]
	v_pk_fma_f32 v[2:3], v[28:29], v[2:3], v[34:35] op_sel:[0,1,0] op_sel_hi:[1,0,1] neg_lo:[0,0,1] neg_hi:[0,0,1]
	v_mov_b32_e32 v34, v31
	v_mov_b32_e32 v36, v37
	v_pk_mul_f32 v[28:29], v[30:31], v[8:9]
	v_pk_mul_f32 v[34:35], v[34:35], v[8:9] op_sel:[0,1] op_sel_hi:[1,0]
	v_pk_fma_f32 v[8:9], v[30:31], v[8:9], v[36:37] op_sel:[0,1,0] op_sel_hi:[1,0,1] neg_lo:[0,0,1] neg_hi:[0,0,1]
	v_pk_mul_f32 v[36:37], v[24:25], v[6:7] op_sel_hi:[1,0]
	v_mov_b32_e32 v30, v7
	v_pk_fma_f32 v[6:7], v[24:25], v[6:7], v[36:37] op_sel:[0,1,1] op_sel_hi:[1,1,0]
	v_pk_fma_f32 v[30:31], v[24:25], v[30:31], v[36:37] op_sel:[0,0,1] op_sel_hi:[1,1,0] neg_lo:[0,0,1] neg_hi:[0,0,1]
	v_mov_b32_e32 v6, v1
	v_pk_mul_f32 v[24:25], v[26:27], v[0:1] op_sel_hi:[1,0]
	v_mov_b32_e32 v31, v7
	v_pk_fma_f32 v[6:7], v[26:27], v[6:7], v[24:25] op_sel:[0,0,1] op_sel_hi:[1,1,0] neg_lo:[0,0,1] neg_hi:[0,0,1]
	v_pk_fma_f32 v[0:1], v[26:27], v[0:1], v[24:25] op_sel:[0,1,1] op_sel_hi:[1,1,0]
	v_pk_mul_f32 v[24:25], v[16:17], v[10:11] op_sel_hi:[1,0]
	v_mov_b32_e32 v0, v11
	v_pk_fma_f32 v[10:11], v[16:17], v[10:11], v[24:25] op_sel:[0,1,1] op_sel_hi:[1,1,0]
	v_mov_b32_e32 v7, v1
	v_pk_fma_f32 v[0:1], v[16:17], v[0:1], v[24:25] op_sel:[0,0,1] op_sel_hi:[1,1,0] neg_lo:[0,0,1] neg_hi:[0,0,1]
	s_waitcnt lgkmcnt(0)
	v_mov_b32_e32 v10, v21
	v_pk_mul_f32 v[16:17], v[18:19], v[20:21] op_sel_hi:[1,0]
	v_mov_b32_e32 v1, v11
	v_pk_fma_f32 v[10:11], v[18:19], v[10:11], v[16:17] op_sel:[0,0,1] op_sel_hi:[1,1,0] neg_lo:[0,0,1] neg_hi:[0,0,1]
	v_pk_fma_f32 v[16:17], v[18:19], v[20:21], v[16:17] op_sel:[0,1,1] op_sel_hi:[1,1,0]
	v_mov_b32_e32 v29, v30
	v_mov_b32_e32 v11, v17
	;; [unrolled: 1-line block ×5, first 2 shown]
	v_pk_add_f32 v[16:17], v[30:31], v[10:11]
	v_pk_add_f32 v[18:19], v[30:31], v[10:11] neg_lo:[0,1] neg_hi:[0,1]
	v_pk_add_f32 v[20:21], v[6:7], v[0:1]
	v_pk_add_f32 v[24:25], v[6:7], v[0:1] neg_lo:[0,1] neg_hi:[0,1]
	v_pk_add_f32 v[10:11], v[28:29], v[34:35]
	v_pk_add_f32 v[0:1], v[22:23], v[32:33]
	v_mov_b32_e32 v9, v10
	v_mov_b32_e32 v3, v0
	v_pk_add_f32 v[6:7], v[8:9], v[2:3] neg_lo:[0,1] neg_hi:[0,1]
	v_mov_b32_e32 v30, v21
	v_mov_b32_e32 v31, v2
	;; [unrolled: 1-line block ×4, first 2 shown]
	v_mad_u64_u32 v[14:15], s[0:1], s6, v46, 0
	v_pk_add_f32 v[2:3], v[30:31], v[2:3]
	v_pk_add_f32 v[8:9], v[0:1], v[10:11]
	v_mov_b32_e32 v22, v6
	v_mov_b32_e32 v23, v19
	;; [unrolled: 1-line block ×4, first 2 shown]
	s_mov_b32 s0, 0x3f08b237
	v_mov_b32_e32 v10, v8
	v_mov_b32_e32 v31, v3
	s_mov_b32 s8, 0x3d64c772
	v_pk_add_f32 v[22:23], v[22:23], v[26:27] neg_lo:[0,1] neg_hi:[0,1]
	s_mov_b32 s1, 0xbeae86e6
	v_mov_b32_e32 v26, v18
	v_mov_b32_e32 v28, v6
	;; [unrolled: 1-line block ×3, first 2 shown]
	v_pk_add_f32 v[30:31], v[10:11], v[30:31] neg_lo:[0,1] neg_hi:[0,1]
	v_mov_b32_e32 v32, v17
	v_mov_b32_e32 v33, v3
	;; [unrolled: 1-line block ×3, first 2 shown]
	v_pk_add_f32 v[2:3], v[2:3], v[8:9]
	s_mov_b32 s9, 0x3f4a47b2
	v_pk_mul_f32 v[22:23], v[22:23], s[0:1]
	v_pk_add_f32 v[26:27], v[26:27], v[28:29] neg_lo:[0,1] neg_hi:[0,1]
	s_mov_b32 s2, s1
	s_mov_b32 s3, s0
	v_pk_add_f32 v[6:7], v[6:7], v[24:25]
	v_pk_add_f32 v[32:33], v[32:33], v[0:1] neg_lo:[0,1] neg_hi:[0,1]
	v_pk_add_f32 v[4:5], v[4:5], v[2:3]
	s_mov_b32 s6, 0xbf955555
	v_pk_mul_f32 v[8:9], v[30:31], s[8:9]
	s_mov_b32 s10, s9
	s_mov_b32 s11, s8
	v_pk_mul_f32 v[28:29], v[26:27], s[2:3]
	v_pk_add_f32 v[6:7], v[6:7], v[18:19]
	s_mov_b32 s0, 0xbee1c552
	v_pk_mul_f32 v[30:31], v[32:33], s[10:11]
	v_pk_fma_f32 v[2:3], v[2:3], s[6:7], v[4:5] op_sel_hi:[1,0,1]
	v_pk_fma_f32 v[32:33], v[32:33], s[10:11], v[8:9]
	v_pk_fma_f32 v[26:27], v[26:27], s[2:3], v[22:23]
	v_pk_add_f32 v[32:33], v[32:33], v[2:3]
	v_pk_fma_f32 v[26:27], v[6:7], s[0:1], v[26:27] op_sel_hi:[1,0,1]
	v_mov_b32_e32 v0, v21
	v_pk_add_f32 v[34:35], v[32:33], v[26:27]
	v_pk_add_f32 v[26:27], v[32:33], v[26:27] neg_lo:[0,1] neg_hi:[0,1]
	v_mov_b32_e32 v32, v34
	v_mov_b32_e32 v33, v27
	v_mov_b32_e32 v10, v17
	ds_write2_b64 v76, v[4:5], v[32:33] offset1:35
	v_pk_add_f32 v[4:5], v[24:25], v[18:19] neg_lo:[0,1] neg_hi:[0,1]
	s_mov_b32 s2, 0xbf5ff5aa
	v_pk_add_f32 v[0:1], v[0:1], v[10:11] neg_lo:[0,1] neg_hi:[0,1]
	s_mov_b32 s6, 0x3f3bfb3b
	v_mov_b32_e32 v10, v30
	v_mov_b32_e32 v11, v9
	;; [unrolled: 1-line block ×6, first 2 shown]
	v_pk_fma_f32 v[10:11], v[0:1], s[6:7], v[10:11] op_sel_hi:[1,0,1] neg_lo:[1,0,1] neg_hi:[1,0,1]
	v_pk_fma_f32 v[16:17], v[4:5], s[2:3], v[16:17] op_sel_hi:[1,0,1] neg_lo:[1,0,1] neg_hi:[1,0,1]
	;; [unrolled: 1-line block ×4, first 2 shown]
	v_pk_add_f32 v[10:11], v[10:11], v[2:3]
	v_pk_fma_f32 v[16:17], v[6:7], s[0:1], v[16:17] op_sel_hi:[1,0,1]
	v_pk_add_f32 v[0:1], v[0:1], v[2:3]
	v_pk_fma_f32 v[2:3], v[6:7], s[0:1], v[4:5] op_sel_hi:[1,0,1]
	v_pk_add_f32 v[18:19], v[10:11], v[16:17]
	v_pk_add_f32 v[10:11], v[10:11], v[16:17] neg_lo:[0,1] neg_hi:[0,1]
	v_pk_add_f32 v[4:5], v[0:1], v[2:3] neg_lo:[0,1] neg_hi:[0,1]
	v_pk_add_f32 v[0:1], v[0:1], v[2:3]
	v_mov_b32_e32 v16, v18
	v_mov_b32_e32 v17, v11
	;; [unrolled: 1-line block ×7, first 2 shown]
	ds_write2_b64 v76, v[16:17], v[2:3] offset0:70 offset1:105
	ds_write2_b64 v76, v[0:1], v[10:11] offset0:140 offset1:175
	ds_write_b64 v76, v[26:27] offset:1680
	s_waitcnt lgkmcnt(0)
	s_barrier
	ds_read2_b64 v[0:3], v76 offset1:35
	v_mov_b32_e32 v4, v15
	v_mad_u64_u32 v[4:5], s[0:1], s7, v46, v[4:5]
	v_mov_b32_e32 v15, v4
	s_waitcnt lgkmcnt(0)
	v_mul_f32_e32 v4, v59, v1
	v_fmac_f32_e32 v4, v58, v0
	v_mul_f32_e32 v0, v59, v0
	s_mov_b32 s0, 0xec259dc8
	v_fma_f32 v0, v58, v1, -v0
	v_cvt_f64_f32_e32 v[4:5], v4
	s_mov_b32 s1, 0x3f70b7e6
	v_cvt_f64_f32_e32 v[0:1], v0
	v_mul_f64 v[4:5], v[4:5], s[0:1]
	v_mul_f64 v[0:1], v[0:1], s[0:1]
	v_cvt_f32_f64_e32 v4, v[4:5]
	v_cvt_f32_f64_e32 v5, v[0:1]
	v_mad_u64_u32 v[0:1], s[2:3], s4, v47, 0
	v_mov_b32_e32 v6, v1
	v_mad_u64_u32 v[6:7], s[2:3], s5, v47, v[6:7]
	v_mov_b32_e32 v1, v6
	v_lshl_add_u64 v[6:7], v[14:15], 3, v[12:13]
	v_lshl_add_u64 v[6:7], v[0:1], 3, v[6:7]
	v_mul_f32_e32 v0, v57, v3
	v_fmac_f32_e32 v0, v56, v2
	v_cvt_f64_f32_e32 v[0:1], v0
	v_mul_f64 v[0:1], v[0:1], s[0:1]
	global_store_dwordx2 v[6:7], v[4:5], off
	v_cvt_f32_f64_e32 v4, v[0:1]
	v_mul_f32_e32 v0, v57, v2
	v_fma_f32 v0, v56, v3, -v0
	v_cvt_f64_f32_e32 v[0:1], v0
	v_mul_f64 v[0:1], v[0:1], s[0:1]
	v_cvt_f32_f64_e32 v5, v[0:1]
	ds_read2_b64 v[0:3], v76 offset0:70 offset1:105
	v_mov_b32_e32 v8, 0x118
	v_mad_u64_u32 v[6:7], s[2:3], s4, v8, v[6:7]
	s_mulk_i32 s5, 0x118
	v_add_u32_e32 v7, s5, v7
	global_store_dwordx2 v[6:7], v[4:5], off
	s_waitcnt lgkmcnt(0)
	v_mul_f32_e32 v4, v55, v1
	v_fmac_f32_e32 v4, v54, v0
	v_mul_f32_e32 v0, v55, v0
	v_fma_f32 v0, v54, v1, -v0
	v_cvt_f64_f32_e32 v[4:5], v4
	v_cvt_f64_f32_e32 v[0:1], v0
	v_mul_f64 v[4:5], v[4:5], s[0:1]
	v_mul_f64 v[0:1], v[0:1], s[0:1]
	v_cvt_f32_f64_e32 v4, v[4:5]
	v_cvt_f32_f64_e32 v5, v[0:1]
	v_mul_f32_e32 v0, v53, v3
	v_fmac_f32_e32 v0, v52, v2
	v_mad_u64_u32 v[6:7], s[2:3], s4, v8, v[6:7]
	v_cvt_f64_f32_e32 v[0:1], v0
	v_add_u32_e32 v7, s5, v7
	v_mul_f64 v[0:1], v[0:1], s[0:1]
	global_store_dwordx2 v[6:7], v[4:5], off
	v_cvt_f32_f64_e32 v4, v[0:1]
	v_mul_f32_e32 v0, v53, v2
	v_fma_f32 v0, v52, v3, -v0
	v_cvt_f64_f32_e32 v[0:1], v0
	v_mul_f64 v[0:1], v[0:1], s[0:1]
	v_cvt_f32_f64_e32 v5, v[0:1]
	ds_read2_b64 v[0:3], v76 offset0:140 offset1:175
	v_mad_u64_u32 v[6:7], s[2:3], s4, v8, v[6:7]
	v_add_u32_e32 v7, s5, v7
	global_store_dwordx2 v[6:7], v[4:5], off
	s_waitcnt lgkmcnt(0)
	v_mul_f32_e32 v4, v51, v1
	v_fmac_f32_e32 v4, v50, v0
	v_mul_f32_e32 v0, v51, v0
	v_fma_f32 v0, v50, v1, -v0
	v_cvt_f64_f32_e32 v[4:5], v4
	v_cvt_f64_f32_e32 v[0:1], v0
	v_mul_f64 v[4:5], v[4:5], s[0:1]
	v_mul_f64 v[0:1], v[0:1], s[0:1]
	v_cvt_f32_f64_e32 v4, v[4:5]
	v_cvt_f32_f64_e32 v5, v[0:1]
	v_mad_u64_u32 v[0:1], s[2:3], s4, v8, v[6:7]
	v_add_u32_e32 v1, s5, v1
	global_store_dwordx2 v[0:1], v[4:5], off
	v_mul_f32_e32 v4, v49, v3
	v_fmac_f32_e32 v4, v48, v2
	v_mul_f32_e32 v2, v49, v2
	v_fma_f32 v2, v48, v3, -v2
	v_cvt_f64_f32_e32 v[4:5], v4
	v_cvt_f64_f32_e32 v[2:3], v2
	v_mul_f64 v[4:5], v[4:5], s[0:1]
	v_mul_f64 v[2:3], v[2:3], s[0:1]
	v_cvt_f32_f64_e32 v4, v[4:5]
	v_cvt_f32_f64_e32 v5, v[2:3]
	ds_read_b64 v[2:3], v76 offset:1680
	v_mad_u64_u32 v[0:1], s[2:3], s4, v8, v[0:1]
	v_add_u32_e32 v1, s5, v1
	global_store_dwordx2 v[0:1], v[4:5], off
	s_waitcnt lgkmcnt(0)
	v_mul_f32_e32 v4, v45, v3
	v_fmac_f32_e32 v4, v44, v2
	v_mul_f32_e32 v2, v45, v2
	v_fma_f32 v2, v44, v3, -v2
	v_cvt_f64_f32_e32 v[4:5], v4
	v_cvt_f64_f32_e32 v[2:3], v2
	v_mul_f64 v[4:5], v[4:5], s[0:1]
	v_mul_f64 v[2:3], v[2:3], s[0:1]
	v_mad_u64_u32 v[0:1], s[0:1], s4, v8, v[0:1]
	v_cvt_f32_f64_e32 v4, v[4:5]
	v_cvt_f32_f64_e32 v5, v[2:3]
	v_add_u32_e32 v1, s5, v1
	global_store_dwordx2 v[0:1], v[4:5], off
.LBB0_10:
	s_endpgm
	.section	.rodata,"a",@progbits
	.p2align	6, 0x0
	.amdhsa_kernel bluestein_single_fwd_len245_dim1_sp_op_CI_CI
		.amdhsa_group_segment_fixed_size 13720
		.amdhsa_private_segment_fixed_size 0
		.amdhsa_kernarg_size 104
		.amdhsa_user_sgpr_count 2
		.amdhsa_user_sgpr_dispatch_ptr 0
		.amdhsa_user_sgpr_queue_ptr 0
		.amdhsa_user_sgpr_kernarg_segment_ptr 1
		.amdhsa_user_sgpr_dispatch_id 0
		.amdhsa_user_sgpr_kernarg_preload_length 0
		.amdhsa_user_sgpr_kernarg_preload_offset 0
		.amdhsa_user_sgpr_private_segment_size 0
		.amdhsa_uses_dynamic_stack 0
		.amdhsa_enable_private_segment 0
		.amdhsa_system_sgpr_workgroup_id_x 1
		.amdhsa_system_sgpr_workgroup_id_y 0
		.amdhsa_system_sgpr_workgroup_id_z 0
		.amdhsa_system_sgpr_workgroup_info 0
		.amdhsa_system_vgpr_workitem_id 0
		.amdhsa_next_free_vgpr 104
		.amdhsa_next_free_sgpr 20
		.amdhsa_accum_offset 104
		.amdhsa_reserve_vcc 1
		.amdhsa_float_round_mode_32 0
		.amdhsa_float_round_mode_16_64 0
		.amdhsa_float_denorm_mode_32 3
		.amdhsa_float_denorm_mode_16_64 3
		.amdhsa_dx10_clamp 1
		.amdhsa_ieee_mode 1
		.amdhsa_fp16_overflow 0
		.amdhsa_tg_split 0
		.amdhsa_exception_fp_ieee_invalid_op 0
		.amdhsa_exception_fp_denorm_src 0
		.amdhsa_exception_fp_ieee_div_zero 0
		.amdhsa_exception_fp_ieee_overflow 0
		.amdhsa_exception_fp_ieee_underflow 0
		.amdhsa_exception_fp_ieee_inexact 0
		.amdhsa_exception_int_div_zero 0
	.end_amdhsa_kernel
	.text
.Lfunc_end0:
	.size	bluestein_single_fwd_len245_dim1_sp_op_CI_CI, .Lfunc_end0-bluestein_single_fwd_len245_dim1_sp_op_CI_CI
                                        ; -- End function
	.section	.AMDGPU.csdata,"",@progbits
; Kernel info:
; codeLenInByte = 6612
; NumSgprs: 26
; NumVgprs: 104
; NumAgprs: 0
; TotalNumVgprs: 104
; ScratchSize: 0
; MemoryBound: 0
; FloatMode: 240
; IeeeMode: 1
; LDSByteSize: 13720 bytes/workgroup (compile time only)
; SGPRBlocks: 3
; VGPRBlocks: 12
; NumSGPRsForWavesPerEU: 26
; NumVGPRsForWavesPerEU: 104
; AccumOffset: 104
; Occupancy: 4
; WaveLimiterHint : 1
; COMPUTE_PGM_RSRC2:SCRATCH_EN: 0
; COMPUTE_PGM_RSRC2:USER_SGPR: 2
; COMPUTE_PGM_RSRC2:TRAP_HANDLER: 0
; COMPUTE_PGM_RSRC2:TGID_X_EN: 1
; COMPUTE_PGM_RSRC2:TGID_Y_EN: 0
; COMPUTE_PGM_RSRC2:TGID_Z_EN: 0
; COMPUTE_PGM_RSRC2:TIDIG_COMP_CNT: 0
; COMPUTE_PGM_RSRC3_GFX90A:ACCUM_OFFSET: 25
; COMPUTE_PGM_RSRC3_GFX90A:TG_SPLIT: 0
	.text
	.p2alignl 6, 3212836864
	.fill 256, 4, 3212836864
	.type	__hip_cuid_bd0f353f55cb35be,@object ; @__hip_cuid_bd0f353f55cb35be
	.section	.bss,"aw",@nobits
	.globl	__hip_cuid_bd0f353f55cb35be
__hip_cuid_bd0f353f55cb35be:
	.byte	0                               ; 0x0
	.size	__hip_cuid_bd0f353f55cb35be, 1

	.ident	"AMD clang version 19.0.0git (https://github.com/RadeonOpenCompute/llvm-project roc-6.4.0 25133 c7fe45cf4b819c5991fe208aaa96edf142730f1d)"
	.section	".note.GNU-stack","",@progbits
	.addrsig
	.addrsig_sym __hip_cuid_bd0f353f55cb35be
	.amdgpu_metadata
---
amdhsa.kernels:
  - .agpr_count:     0
    .args:
      - .actual_access:  read_only
        .address_space:  global
        .offset:         0
        .size:           8
        .value_kind:     global_buffer
      - .actual_access:  read_only
        .address_space:  global
        .offset:         8
        .size:           8
        .value_kind:     global_buffer
      - .actual_access:  read_only
        .address_space:  global
        .offset:         16
        .size:           8
        .value_kind:     global_buffer
      - .actual_access:  read_only
        .address_space:  global
        .offset:         24
        .size:           8
        .value_kind:     global_buffer
      - .actual_access:  read_only
        .address_space:  global
        .offset:         32
        .size:           8
        .value_kind:     global_buffer
      - .offset:         40
        .size:           8
        .value_kind:     by_value
      - .address_space:  global
        .offset:         48
        .size:           8
        .value_kind:     global_buffer
      - .address_space:  global
        .offset:         56
        .size:           8
        .value_kind:     global_buffer
      - .address_space:  global
        .offset:         64
        .size:           8
        .value_kind:     global_buffer
      - .address_space:  global
        .offset:         72
        .size:           8
        .value_kind:     global_buffer
      - .offset:         80
        .size:           4
        .value_kind:     by_value
      - .address_space:  global
        .offset:         88
        .size:           8
        .value_kind:     global_buffer
      - .address_space:  global
        .offset:         96
        .size:           8
        .value_kind:     global_buffer
    .group_segment_fixed_size: 13720
    .kernarg_segment_align: 8
    .kernarg_segment_size: 104
    .language:       OpenCL C
    .language_version:
      - 2
      - 0
    .max_flat_workgroup_size: 245
    .name:           bluestein_single_fwd_len245_dim1_sp_op_CI_CI
    .private_segment_fixed_size: 0
    .sgpr_count:     26
    .sgpr_spill_count: 0
    .symbol:         bluestein_single_fwd_len245_dim1_sp_op_CI_CI.kd
    .uniform_work_group_size: 1
    .uses_dynamic_stack: false
    .vgpr_count:     104
    .vgpr_spill_count: 0
    .wavefront_size: 64
amdhsa.target:   amdgcn-amd-amdhsa--gfx950
amdhsa.version:
  - 1
  - 2
...

	.end_amdgpu_metadata
